;; amdgpu-corpus repo=ROCm/rocFFT kind=compiled arch=gfx906 opt=O3
	.text
	.amdgcn_target "amdgcn-amd-amdhsa--gfx906"
	.amdhsa_code_object_version 6
	.protected	fft_rtc_back_len112_factors_4_7_4_wgs_448_tpt_28_half_ip_CI_sbcc_twdbase8_3step_dirReg ; -- Begin function fft_rtc_back_len112_factors_4_7_4_wgs_448_tpt_28_half_ip_CI_sbcc_twdbase8_3step_dirReg
	.globl	fft_rtc_back_len112_factors_4_7_4_wgs_448_tpt_28_half_ip_CI_sbcc_twdbase8_3step_dirReg
	.p2align	8
	.type	fft_rtc_back_len112_factors_4_7_4_wgs_448_tpt_28_half_ip_CI_sbcc_twdbase8_3step_dirReg,@function
fft_rtc_back_len112_factors_4_7_4_wgs_448_tpt_28_half_ip_CI_sbcc_twdbase8_3step_dirReg: ; @fft_rtc_back_len112_factors_4_7_4_wgs_448_tpt_28_half_ip_CI_sbcc_twdbase8_3step_dirReg
; %bb.0:
	s_load_dwordx4 s[0:3], s[4:5], 0x18
	s_mov_b32 s7, 0
	s_mov_b64 s[24:25], 0
	s_waitcnt lgkmcnt(0)
	s_load_dwordx2 s[20:21], s[0:1], 0x8
	s_waitcnt lgkmcnt(0)
	s_add_u32 s8, s20, -1
	s_addc_u32 s9, s21, -1
	s_lshr_b64 s[8:9], s[8:9], 4
	s_add_u32 s22, s8, 1
	s_addc_u32 s23, s9, 0
	v_mov_b32_e32 v1, s22
	v_mov_b32_e32 v2, s23
	v_cmp_lt_u64_e32 vcc, s[6:7], v[1:2]
	s_cbranch_vccnz .LBB0_2
; %bb.1:
	v_cvt_f32_u32_e32 v1, s22
	s_sub_i32 s8, 0, s22
	s_mov_b32 s25, s7
	v_rcp_iflag_f32_e32 v1, v1
	v_mul_f32_e32 v1, 0x4f7ffffe, v1
	v_cvt_u32_f32_e32 v1, v1
	v_readfirstlane_b32 s9, v1
	s_mul_i32 s8, s8, s9
	s_mul_hi_u32 s8, s9, s8
	s_add_i32 s9, s9, s8
	s_mul_hi_u32 s8, s6, s9
	s_mul_i32 s10, s8, s22
	s_sub_i32 s10, s6, s10
	s_add_i32 s9, s8, 1
	s_sub_i32 s11, s10, s22
	s_cmp_ge_u32 s10, s22
	s_cselect_b32 s8, s9, s8
	s_cselect_b32 s10, s11, s10
	s_add_i32 s9, s8, 1
	s_cmp_ge_u32 s10, s22
	s_cselect_b32 s24, s9, s8
.LBB0_2:
	s_load_dwordx2 s[16:17], s[4:5], 0x58
	s_load_dwordx4 s[8:11], s[2:3], 0x0
	s_mul_i32 s12, s24, s23
	s_mul_hi_u32 s13, s24, s22
	s_add_i32 s13, s13, s12
	s_mul_i32 s12, s24, s22
	s_sub_u32 s26, s6, s12
	s_subb_u32 s27, 0, s13
	v_mov_b32_e32 v1, s26
	v_alignbit_b32 v1, s27, v1, 28
	s_waitcnt lgkmcnt(0)
	v_mul_lo_u32 v1, s10, v1
	s_load_dwordx2 s[18:19], s[4:5], 0x0
	s_load_dwordx4 s[12:15], s[4:5], 0x8
	s_lshl_b64 s[4:5], s[26:27], 4
	s_mul_hi_u32 s26, s10, s4
	v_add_u32_e32 v1, s26, v1
	s_mul_i32 s26, s11, s4
	v_add_u32_e32 v3, s26, v1
	s_waitcnt lgkmcnt(0)
	v_cmp_lt_u64_e64 s[26:27], s[14:15], 3
	s_mul_i32 s28, s10, s4
	v_mov_b32_e32 v4, s28
	s_and_b64 vcc, exec, s[26:27]
	s_cbranch_vccnz .LBB0_11
; %bb.3:
	s_add_u32 s26, s2, 16
	s_addc_u32 s27, s3, 0
	s_add_u32 s28, s0, 16
	v_mov_b32_e32 v1, s14
	s_addc_u32 s29, s1, 0
	s_mov_b64 s[30:31], 2
	s_mov_b32 s34, 0
	v_mov_b32_e32 v2, s15
	s_branch .LBB0_5
.LBB0_4:                                ;   in Loop: Header=BB0_5 Depth=1
	s_mul_i32 s23, s36, s23
	s_mul_hi_u32 s33, s36, s22
	s_add_i32 s23, s33, s23
	s_mul_i32 s33, s37, s22
	s_add_i32 s23, s23, s33
	s_mul_i32 s33, s0, s37
	s_mul_hi_u32 s35, s0, s36
	s_load_dwordx2 s[38:39], s[26:27], 0x0
	s_add_i32 s33, s35, s33
	s_mul_i32 s35, s1, s36
	s_add_i32 s33, s33, s35
	s_mul_i32 s35, s0, s36
	s_sub_u32 s24, s24, s35
	s_subb_u32 s25, s25, s33
	s_waitcnt lgkmcnt(0)
	s_mul_i32 s25, s38, s25
	s_mul_hi_u32 s33, s38, s24
	s_add_i32 s25, s33, s25
	s_mul_i32 s33, s39, s24
	s_add_i32 s25, s25, s33
	s_mul_i32 s24, s38, s24
	s_add_u32 s30, s30, 1
	v_mov_b32_e32 v5, s25
	v_add_co_u32_e32 v4, vcc, s24, v4
	s_addc_u32 s31, s31, 0
	v_addc_co_u32_e32 v3, vcc, v5, v3, vcc
	s_add_u32 s26, s26, 8
	s_addc_u32 s27, s27, 0
	v_cmp_ge_u64_e32 vcc, s[30:31], v[1:2]
	s_add_u32 s28, s28, 8
	s_mul_i32 s22, s36, s22
	s_addc_u32 s29, s29, 0
	s_mov_b64 s[24:25], s[0:1]
	s_cbranch_vccnz .LBB0_9
.LBB0_5:                                ; =>This Inner Loop Header: Depth=1
	s_load_dwordx2 s[36:37], s[28:29], 0x0
	s_waitcnt lgkmcnt(0)
	s_or_b64 s[0:1], s[24:25], s[36:37]
	s_mov_b32 s35, s1
	s_cmp_lg_u64 s[34:35], 0
	s_cbranch_scc0 .LBB0_7
; %bb.6:                                ;   in Loop: Header=BB0_5 Depth=1
	v_cvt_f32_u32_e32 v5, s36
	v_cvt_f32_u32_e32 v6, s37
	s_sub_u32 s0, 0, s36
	s_subb_u32 s1, 0, s37
	v_mac_f32_e32 v5, 0x4f800000, v6
	v_rcp_f32_e32 v5, v5
	v_mul_f32_e32 v5, 0x5f7ffffc, v5
	v_mul_f32_e32 v6, 0x2f800000, v5
	v_trunc_f32_e32 v6, v6
	v_mac_f32_e32 v5, 0xcf800000, v6
	v_cvt_u32_f32_e32 v6, v6
	v_cvt_u32_f32_e32 v5, v5
	v_readfirstlane_b32 s33, v6
	v_readfirstlane_b32 s35, v5
	s_mul_i32 s38, s0, s33
	s_mul_hi_u32 s40, s0, s35
	s_mul_i32 s39, s1, s35
	s_add_i32 s38, s40, s38
	s_mul_i32 s41, s0, s35
	s_add_i32 s38, s38, s39
	s_mul_hi_u32 s39, s35, s38
	s_mul_i32 s40, s35, s38
	s_mul_hi_u32 s35, s35, s41
	s_add_u32 s35, s35, s40
	s_addc_u32 s39, 0, s39
	s_mul_hi_u32 s42, s33, s41
	s_mul_i32 s41, s33, s41
	s_add_u32 s35, s35, s41
	s_mul_hi_u32 s40, s33, s38
	s_addc_u32 s35, s39, s42
	s_addc_u32 s39, s40, 0
	s_mul_i32 s38, s33, s38
	s_add_u32 s35, s35, s38
	s_addc_u32 s38, 0, s39
	v_add_co_u32_e32 v5, vcc, s35, v5
	s_cmp_lg_u64 vcc, 0
	s_addc_u32 s33, s33, s38
	v_readfirstlane_b32 s38, v5
	s_mul_i32 s35, s0, s33
	s_mul_hi_u32 s39, s0, s38
	s_add_i32 s35, s39, s35
	s_mul_i32 s1, s1, s38
	s_add_i32 s35, s35, s1
	s_mul_i32 s0, s0, s38
	s_mul_hi_u32 s39, s33, s0
	s_mul_i32 s40, s33, s0
	s_mul_i32 s42, s38, s35
	s_mul_hi_u32 s0, s38, s0
	s_mul_hi_u32 s41, s38, s35
	s_add_u32 s0, s0, s42
	s_addc_u32 s38, 0, s41
	s_add_u32 s0, s0, s40
	s_mul_hi_u32 s1, s33, s35
	s_addc_u32 s0, s38, s39
	s_addc_u32 s1, s1, 0
	s_mul_i32 s35, s33, s35
	s_add_u32 s0, s0, s35
	s_addc_u32 s1, 0, s1
	v_add_co_u32_e32 v5, vcc, s0, v5
	s_cmp_lg_u64 vcc, 0
	s_addc_u32 s0, s33, s1
	v_readfirstlane_b32 s35, v5
	s_mul_i32 s33, s24, s0
	s_mul_hi_u32 s38, s24, s35
	s_mul_hi_u32 s1, s24, s0
	s_add_u32 s33, s38, s33
	s_addc_u32 s1, 0, s1
	s_mul_hi_u32 s39, s25, s35
	s_mul_i32 s35, s25, s35
	s_add_u32 s33, s33, s35
	s_mul_hi_u32 s38, s25, s0
	s_addc_u32 s1, s1, s39
	s_addc_u32 s33, s38, 0
	s_mul_i32 s0, s25, s0
	s_add_u32 s35, s1, s0
	s_addc_u32 s33, 0, s33
	s_mul_i32 s0, s36, s33
	s_mul_hi_u32 s1, s36, s35
	s_add_i32 s0, s1, s0
	s_mul_i32 s1, s37, s35
	s_add_i32 s38, s0, s1
	s_mul_i32 s1, s36, s35
	v_mov_b32_e32 v5, s1
	s_sub_i32 s0, s25, s38
	v_sub_co_u32_e32 v5, vcc, s24, v5
	s_cmp_lg_u64 vcc, 0
	s_subb_u32 s39, s0, s37
	v_subrev_co_u32_e64 v6, s[0:1], s36, v5
	s_cmp_lg_u64 s[0:1], 0
	s_subb_u32 s0, s39, 0
	s_cmp_ge_u32 s0, s37
	v_readfirstlane_b32 s39, v6
	s_cselect_b32 s1, -1, 0
	s_cmp_ge_u32 s39, s36
	s_cselect_b32 s39, -1, 0
	s_cmp_eq_u32 s0, s37
	s_cselect_b32 s0, s39, s1
	s_add_u32 s1, s35, 1
	s_addc_u32 s39, s33, 0
	s_add_u32 s40, s35, 2
	s_addc_u32 s41, s33, 0
	s_cmp_lg_u32 s0, 0
	s_cselect_b32 s0, s40, s1
	s_cselect_b32 s1, s41, s39
	s_cmp_lg_u64 vcc, 0
	s_subb_u32 s38, s25, s38
	s_cmp_ge_u32 s38, s37
	v_readfirstlane_b32 s40, v5
	s_cselect_b32 s39, -1, 0
	s_cmp_ge_u32 s40, s36
	s_cselect_b32 s40, -1, 0
	s_cmp_eq_u32 s38, s37
	s_cselect_b32 s38, s40, s39
	s_cmp_lg_u32 s38, 0
	s_cselect_b32 s1, s1, s33
	s_cselect_b32 s0, s0, s35
	s_cbranch_execnz .LBB0_4
	s_branch .LBB0_8
.LBB0_7:                                ;   in Loop: Header=BB0_5 Depth=1
                                        ; implicit-def: $sgpr0_sgpr1
.LBB0_8:                                ;   in Loop: Header=BB0_5 Depth=1
	v_cvt_f32_u32_e32 v5, s36
	s_sub_i32 s0, 0, s36
	v_rcp_iflag_f32_e32 v5, v5
	v_mul_f32_e32 v5, 0x4f7ffffe, v5
	v_cvt_u32_f32_e32 v5, v5
	v_readfirstlane_b32 s1, v5
	s_mul_i32 s0, s0, s1
	s_mul_hi_u32 s0, s1, s0
	s_add_i32 s1, s1, s0
	s_mul_hi_u32 s0, s24, s1
	s_mul_i32 s33, s0, s36
	s_sub_i32 s33, s24, s33
	s_add_i32 s1, s0, 1
	s_sub_i32 s35, s33, s36
	s_cmp_ge_u32 s33, s36
	s_cselect_b32 s0, s1, s0
	s_cselect_b32 s33, s35, s33
	s_add_i32 s1, s0, 1
	s_cmp_ge_u32 s33, s36
	s_cselect_b32 s0, s1, s0
	s_mov_b32 s1, s34
	s_branch .LBB0_4
.LBB0_9:
	v_mov_b32_e32 v1, s22
	v_mov_b32_e32 v2, s23
	v_cmp_lt_u64_e32 vcc, s[6:7], v[1:2]
	s_mov_b64 s[24:25], 0
	s_cbranch_vccnz .LBB0_11
; %bb.10:
	v_cvt_f32_u32_e32 v1, s22
	s_sub_i32 s0, 0, s22
	v_rcp_iflag_f32_e32 v1, v1
	v_mul_f32_e32 v1, 0x4f7ffffe, v1
	v_cvt_u32_f32_e32 v1, v1
	v_readfirstlane_b32 s1, v1
	s_mul_i32 s0, s0, s1
	s_mul_hi_u32 s0, s1, s0
	s_add_i32 s1, s1, s0
	s_mul_hi_u32 s0, s6, s1
	s_mul_i32 s7, s0, s22
	s_sub_i32 s6, s6, s7
	s_add_i32 s1, s0, 1
	s_sub_i32 s7, s6, s22
	s_cmp_ge_u32 s6, s22
	s_cselect_b32 s0, s1, s0
	s_cselect_b32 s6, s7, s6
	s_add_i32 s1, s0, 1
	s_cmp_ge_u32 s6, s22
	s_cselect_b32 s24, s1, s0
.LBB0_11:
	s_lshl_b64 s[0:1], s[14:15], 3
	s_add_u32 s0, s2, s0
	s_addc_u32 s1, s3, s1
	s_load_dwordx2 s[0:1], s[0:1], 0x0
	v_and_b32_e32 v10, 15, v0
	v_mov_b32_e32 v5, s20
	v_mov_b32_e32 v6, s21
	v_lshrrev_b32_e32 v11, 4, v0
	s_waitcnt lgkmcnt(0)
	s_mul_i32 s1, s1, s24
	s_mul_hi_u32 s2, s0, s24
	s_mul_i32 s0, s0, s24
	s_add_i32 s1, s2, s1
	v_mov_b32_e32 v2, s1
	v_add_co_u32_e32 v1, vcc, s0, v4
	s_add_u32 s0, s4, 16
	v_addc_co_u32_e32 v2, vcc, v2, v3, vcc
	v_or_b32_e32 v3, s4, v10
	v_mov_b32_e32 v4, s5
	s_addc_u32 s1, s5, 0
	v_cmp_le_u64_e32 vcc, s[0:1], v[5:6]
	v_cmp_gt_u64_e64 s[0:1], s[20:21], v[3:4]
	v_lshlrev_b64 v[1:2], 2, v[1:2]
	s_or_b64 s[0:1], vcc, s[0:1]
                                        ; implicit-def: $vgpr4
                                        ; implicit-def: $vgpr6
                                        ; implicit-def: $vgpr5
                                        ; implicit-def: $vgpr7
	s_and_saveexec_b64 s[2:3], s[0:1]
	s_cbranch_execz .LBB0_13
; %bb.12:
	v_mad_u64_u32 v[4:5], s[4:5], s10, v10, 0
	v_mad_u64_u32 v[6:7], s[4:5], s8, v11, 0
	v_add_u32_e32 v14, 28, v11
	v_mad_u64_u32 v[8:9], s[4:5], s11, v10, v[5:6]
	v_mov_b32_e32 v5, v7
	v_mad_u64_u32 v[12:13], s[4:5], s9, v11, v[5:6]
	v_mov_b32_e32 v5, v8
	v_mov_b32_e32 v8, s17
	;; [unrolled: 1-line block ×3, first 2 shown]
	v_add_co_u32_e32 v12, vcc, s16, v1
	v_addc_co_u32_e32 v13, vcc, v8, v2, vcc
	v_mad_u64_u32 v[8:9], s[4:5], s8, v14, 0
	v_lshlrev_b64 v[4:5], 2, v[4:5]
	v_add_co_u32_e32 v18, vcc, v12, v4
	v_addc_co_u32_e32 v19, vcc, v13, v5, vcc
	v_lshlrev_b64 v[4:5], 2, v[6:7]
	v_mov_b32_e32 v6, v9
	v_mad_u64_u32 v[6:7], s[4:5], s9, v14, v[6:7]
	v_add_u32_e32 v7, 56, v11
	v_mad_u64_u32 v[12:13], s[4:5], s8, v7, 0
	v_add_co_u32_e32 v14, vcc, v18, v4
	v_mov_b32_e32 v9, v6
	v_mov_b32_e32 v6, v13
	v_addc_co_u32_e32 v15, vcc, v19, v5, vcc
	v_lshlrev_b64 v[4:5], 2, v[8:9]
	v_mad_u64_u32 v[6:7], s[4:5], s9, v7, v[6:7]
	v_add_u32_e32 v9, 0x54, v11
	v_mad_u64_u32 v[7:8], s[4:5], s8, v9, 0
	v_mov_b32_e32 v13, v6
	v_add_co_u32_e32 v16, vcc, v18, v4
	v_mov_b32_e32 v6, v8
	v_mad_u64_u32 v[8:9], s[4:5], s9, v9, v[6:7]
	v_addc_co_u32_e32 v17, vcc, v19, v5, vcc
	v_lshlrev_b64 v[4:5], 2, v[12:13]
	v_add_co_u32_e32 v12, vcc, v18, v4
	v_addc_co_u32_e32 v13, vcc, v19, v5, vcc
	v_lshlrev_b64 v[4:5], 2, v[7:8]
	v_add_co_u32_e32 v8, vcc, v18, v4
	v_addc_co_u32_e32 v9, vcc, v19, v5, vcc
	global_load_dword v4, v[14:15], off
	global_load_dword v5, v[16:17], off
	global_load_dword v6, v[12:13], off
	global_load_dword v7, v[8:9], off
.LBB0_13:
	s_or_b64 exec, exec, s[2:3]
	s_waitcnt vmcnt(1)
	v_pk_add_f16 v8, v4, v6 neg_lo:[0,1] neg_hi:[0,1]
	s_waitcnt vmcnt(0)
	v_pk_add_f16 v9, v5, v7 neg_lo:[0,1] neg_hi:[0,1]
	v_pk_fma_f16 v4, v4, 2.0, v8 op_sel_hi:[1,0,1] neg_lo:[0,0,1] neg_hi:[0,0,1]
	v_pk_fma_f16 v5, v5, 2.0, v9 op_sel_hi:[1,0,1] neg_lo:[0,0,1] neg_hi:[0,0,1]
	v_pk_add_f16 v6, v4, v5 neg_lo:[0,1] neg_hi:[0,1]
	v_alignbit_b32 v5, s0, v9, 16
	v_pk_add_f16 v7, v8, v5
	v_alignbit_b32 v5, s0, v8, 16
	v_lshrrev_b32_e32 v12, 16, v8
	v_pk_add_f16 v14, v5, v9 neg_lo:[0,1] neg_hi:[0,1]
	v_fma_f16 v5, v8, 2.0, -v7
	v_fma_f16 v15, v12, 2.0, -v14
	v_lshlrev_b32_e32 v8, 8, v11
	v_lshlrev_b32_e32 v12, 2, v10
	v_pk_fma_f16 v4, v4, 2.0, v6 op_sel_hi:[1,0,1] neg_lo:[0,0,1] neg_hi:[0,0,1]
	v_add3_u32 v8, 0, v8, v12
	v_pack_b32_f16 v9, v5, v15
	s_movk_i32 s2, 0x100
	ds_write2_b32 v8, v4, v9 offset1:16
	v_pack_b32_f16 v9, v7, v14
	v_cmp_gt_u32_e32 vcc, s2, v0
	v_lshrrev_b32_e32 v16, 16, v6
	ds_write2_b32 v8, v6, v9 offset0:32 offset1:48
	s_waitcnt lgkmcnt(0)
	s_barrier
	s_waitcnt lgkmcnt(0)
                                        ; implicit-def: $vgpr20
                                        ; implicit-def: $vgpr18
                                        ; implicit-def: $vgpr19
                                        ; implicit-def: $vgpr9
                                        ; implicit-def: $vgpr17
	s_and_saveexec_b64 s[2:3], vcc
	s_cbranch_execz .LBB0_15
; %bb.14:
	v_and_b32_e32 v4, 0xf0, v0
	v_lshlrev_b32_e32 v4, 2, v4
	v_add3_u32 v13, 0, v4, v12
	ds_read2st64_b32 v[4:5], v13 offset1:4
	ds_read2st64_b32 v[6:7], v13 offset0:8 offset1:12
	ds_read2st64_b32 v[8:9], v13 offset0:16 offset1:20
	ds_read_b32 v18, v13 offset:6144
	s_waitcnt lgkmcnt(3)
	v_lshrrev_b32_e32 v15, 16, v5
	s_waitcnt lgkmcnt(2)
	v_lshrrev_b32_e32 v16, 16, v6
	v_lshrrev_b32_e32 v14, 16, v7
	s_waitcnt lgkmcnt(1)
	v_lshrrev_b32_e32 v17, 16, v8
	;; [unrolled: 3-line block ×3, first 2 shown]
.LBB0_15:
	s_or_b64 exec, exec, s[2:3]
	s_barrier
	s_and_saveexec_b64 s[2:3], vcc
	s_cbranch_execz .LBB0_17
; %bb.16:
	v_bfe_u32 v13, v0, 4, 2
	v_mul_u32_u24_e32 v21, 6, v13
	v_lshlrev_b32_e32 v27, 2, v21
	global_load_dwordx2 v[25:26], v27, s[18:19] offset:16
	global_load_dwordx4 v[21:24], v27, s[18:19]
	s_mov_b32 s7, 0xb574
	s_movk_i32 s20, 0x2b26
	s_movk_i32 s14, 0x3574
	s_mov_b32 s6, 0xb9e0
	s_movk_i32 s4, 0x39e0
	s_mov_b32 s15, 0xbcab
	s_mov_b32 s5, 0xb70e
	s_waitcnt vmcnt(1)
	v_mul_f16_sdwa v27, v20, v26 dst_sel:DWORD dst_unused:UNUSED_PAD src0_sel:DWORD src1_sel:WORD_1
	s_waitcnt vmcnt(0)
	v_mul_f16_sdwa v28, v17, v24 dst_sel:DWORD dst_unused:UNUSED_PAD src0_sel:DWORD src1_sel:WORD_1
	v_mul_f16_sdwa v29, v18, v26 dst_sel:DWORD dst_unused:UNUSED_PAD src0_sel:DWORD src1_sel:WORD_1
	;; [unrolled: 1-line block ×5, first 2 shown]
	v_fma_f16 v18, v18, v26, v27
	v_mul_f16_sdwa v27, v16, v22 dst_sel:DWORD dst_unused:UNUSED_PAD src0_sel:DWORD src1_sel:WORD_1
	v_fma_f16 v20, v20, v26, -v29
	v_mul_f16_sdwa v26, v8, v24 dst_sel:DWORD dst_unused:UNUSED_PAD src0_sel:DWORD src1_sel:WORD_1
	v_fma_f16 v19, v19, v25, -v30
	v_mul_f16_sdwa v29, v7, v23 dst_sel:DWORD dst_unused:UNUSED_PAD src0_sel:DWORD src1_sel:WORD_1
	v_fma_f16 v9, v9, v25, v31
	v_mul_f16_sdwa v25, v6, v22 dst_sel:DWORD dst_unused:UNUSED_PAD src0_sel:DWORD src1_sel:WORD_1
	v_mul_f16_sdwa v30, v5, v21 dst_sel:DWORD dst_unused:UNUSED_PAD src0_sel:DWORD src1_sel:WORD_1
	v_fma_f16 v8, v8, v24, v28
	v_mul_f16_sdwa v28, v15, v21 dst_sel:DWORD dst_unused:UNUSED_PAD src0_sel:DWORD src1_sel:WORD_1
	v_fma_f16 v7, v7, v23, v32
	v_fma_f16 v6, v6, v22, v27
	v_fma_f16 v15, v15, v21, -v30
	v_fma_f16 v5, v5, v21, v28
	v_fma_f16 v14, v14, v23, -v29
	v_fma_f16 v17, v17, v24, -v26
	;; [unrolled: 1-line block ×3, first 2 shown]
	v_sub_f16_e32 v21, v5, v18
	v_sub_f16_e32 v22, v8, v7
	;; [unrolled: 1-line block ×3, first 2 shown]
	v_add_f16_e32 v24, v15, v20
	v_add_f16_e32 v25, v14, v17
	;; [unrolled: 1-line block ×6, first 2 shown]
	v_sub_f16_e32 v8, v15, v20
	v_sub_f16_e32 v9, v17, v14
	;; [unrolled: 1-line block ×5, first 2 shown]
	v_add_f16_e32 v17, v22, v23
	v_sub_f16_e32 v18, v24, v25
	v_sub_f16_e32 v19, v25, v26
	v_add_f16_e32 v20, v26, v24
	v_sub_f16_e32 v22, v5, v7
	v_sub_f16_e32 v27, v7, v6
	;; [unrolled: 1-line block ×3, first 2 shown]
	v_add_f16_e32 v26, v6, v5
	v_sub_f16_e32 v5, v6, v5
	v_sub_f16_e32 v6, v8, v9
	v_sub_f16_e32 v23, v23, v21
	v_sub_f16_e32 v28, v9, v14
	v_add_f16_e32 v9, v9, v14
	v_sub_f16_e32 v14, v14, v8
	v_add_f16_e32 v17, v17, v21
	v_mul_f16_e32 v16, 0x3846, v16
	v_mul_f16_e32 v18, 0x3a52, v18
	v_add_f16_e32 v20, v25, v20
	v_mul_f16_e32 v21, 0x2b26, v19
	v_mul_f16_e32 v22, 0x3a52, v22
	v_add_f16_e32 v7, v7, v26
	v_mul_f16_e32 v26, 0x3846, v28
	v_add_f16_e32 v8, v9, v8
	v_mul_f16_e32 v9, 0xbb00, v23
	v_mul_f16_e32 v28, 0xbb00, v14
	;; [unrolled: 1-line block ×3, first 2 shown]
	v_add_f16_sdwa v29, v4, v20 dst_sel:DWORD dst_unused:UNUSED_PAD src0_sel:WORD_1 src1_sel:DWORD
	v_add_f16_e32 v4, v4, v7
	v_fma_f16 v19, v19, s20, v18
	v_fma_f16 v18, v24, s6, -v18
	v_fma_f16 v21, v24, s4, -v21
	;; [unrolled: 1-line block ×3, first 2 shown]
	v_fma_f16 v15, v15, s7, v16
	v_fma_f16 v24, v27, s20, v22
	v_fma_f16 v27, v6, s14, -v28
	v_fma_f16 v6, v6, s7, v26
	s_mov_b32 s7, 0xbb00
	v_fma_f16 v20, v20, s15, v29
	v_fma_f16 v7, v7, s15, v4
	v_fma_f16 v22, v5, s6, -v22
	v_fma_f16 v14, v14, s7, -v26
	;; [unrolled: 1-line block ×3, first 2 shown]
	v_add_f16_e32 v18, v18, v20
	v_fma_f16 v6, v8, s5, v6
	v_fma_f16 v16, v23, s7, -v16
	v_fma_f16 v9, v17, s5, v9
	v_fma_f16 v27, v8, s5, v27
	v_fma_f16 v8, v8, s5, v14
	v_add_f16_e32 v5, v5, v7
	v_fma_f16 v15, v17, s5, v15
	v_add_f16_e32 v24, v24, v7
	v_fma_f16 v16, v17, s5, v16
	v_add_f16_e32 v17, v9, v18
	v_add_f16_e32 v22, v22, v7
	;; [unrolled: 1-line block ×3, first 2 shown]
	v_sub_f16_e32 v5, v5, v8
	v_sub_f16_e32 v8, v18, v9
	v_lshrrev_b32_e32 v18, 6, v0
	v_mul_u32_u24_e32 v18, 28, v18
	v_add_f16_e32 v19, v19, v20
	v_or_b32_e32 v13, v18, v13
	v_add_f16_e32 v20, v21, v20
	v_add_f16_e32 v21, v15, v19
	v_sub_f16_e32 v23, v24, v6
	v_sub_f16_e32 v15, v19, v15
	v_add_f16_e32 v6, v6, v24
	v_lshlrev_b32_e32 v13, 6, v13
	v_sub_f16_e32 v14, v20, v16
	v_add_f16_e32 v16, v16, v20
	v_add_f16_e32 v9, v27, v22
	v_add3_u32 v13, 0, v13, v12
	v_pack_b32_f16 v4, v4, v29
	v_pack_b32_f16 v6, v6, v15
	v_sub_f16_e32 v26, v22, v27
	ds_write2st64_b32 v13, v4, v6 offset1:1
	v_pack_b32_f16 v4, v9, v8
	v_pack_b32_f16 v5, v5, v16
	ds_write2st64_b32 v13, v4, v5 offset0:2 offset1:3
	v_pack_b32_f16 v4, v7, v14
	v_pack_b32_f16 v5, v26, v17
	ds_write2st64_b32 v13, v4, v5 offset0:4 offset1:5
	v_pack_b32_f16 v4, v23, v21
	ds_write_b32 v13, v4 offset:1536
.LBB0_17:
	s_or_b64 exec, exec, s[2:3]
	s_waitcnt lgkmcnt(0)
	s_barrier
	s_and_saveexec_b64 s[2:3], s[0:1]
	s_cbranch_execz .LBB0_19
; %bb.18:
	v_lshrrev_b16_e32 v4, 2, v11
	v_and_b32_e32 v4, 63, v4
	v_mul_lo_u16_e32 v4, 37, v4
	v_mov_b32_e32 v5, 28
	v_mul_lo_u16_sdwa v4, v4, v5 dst_sel:DWORD dst_unused:UNUSED_PAD src0_sel:BYTE_1 src1_sel:DWORD
	v_sub_u16_e32 v4, v11, v4
	v_and_b32_e32 v4, 0xff, v4
	v_mul_u32_u24_e32 v5, 3, v4
	v_add_u32_e32 v8, 0x54, v4
	v_lshlrev_b32_e32 v5, 2, v5
	v_add_u32_e32 v9, 56, v4
	v_mul_lo_u32 v8, v3, v8
	global_load_dwordx3 v[5:7], v5, s[18:19] offset:96
	v_add_u32_e32 v14, 28, v4
	v_mul_lo_u32 v9, v3, v9
	v_mul_lo_u32 v14, v3, v14
	v_mov_b32_e32 v13, 2
	v_lshlrev_b32_sdwa v15, v13, v8 dst_sel:DWORD dst_unused:UNUSED_PAD src0_sel:DWORD src1_sel:BYTE_0
	v_lshlrev_b32_sdwa v16, v13, v8 dst_sel:DWORD dst_unused:UNUSED_PAD src0_sel:DWORD src1_sel:BYTE_1
	v_lshlrev_b32_sdwa v17, v13, v9 dst_sel:DWORD dst_unused:UNUSED_PAD src0_sel:DWORD src1_sel:BYTE_0
	global_load_dword v18, v15, s[12:13]
	global_load_dword v19, v16, s[12:13] offset:1024
	v_lshlrev_b32_sdwa v15, v13, v9 dst_sel:DWORD dst_unused:UNUSED_PAD src0_sel:DWORD src1_sel:BYTE_1
	global_load_dword v16, v17, s[12:13]
	global_load_dword v20, v15, s[12:13] offset:1024
	v_lshlrev_b32_sdwa v15, v13, v14 dst_sel:DWORD dst_unused:UNUSED_PAD src0_sel:DWORD src1_sel:BYTE_2
	v_lshlrev_b32_sdwa v8, v13, v8 dst_sel:DWORD dst_unused:UNUSED_PAD src0_sel:DWORD src1_sel:BYTE_2
	v_lshlrev_b32_sdwa v9, v13, v9 dst_sel:DWORD dst_unused:UNUSED_PAD src0_sel:DWORD src1_sel:BYTE_2
	global_load_dword v17, v15, s[12:13] offset:2048
	global_load_dword v21, v9, s[12:13] offset:2048
	;; [unrolled: 1-line block ×3, first 2 shown]
	v_lshlrev_b32_sdwa v8, v13, v14 dst_sel:DWORD dst_unused:UNUSED_PAD src0_sel:DWORD src1_sel:BYTE_0
	global_load_dword v15, v8, s[12:13]
	v_lshlrev_b32_sdwa v8, v13, v14 dst_sel:DWORD dst_unused:UNUSED_PAD src0_sel:DWORD src1_sel:BYTE_1
	global_load_dword v14, v8, s[12:13] offset:1024
	v_mul_lo_u32 v3, v3, v4
	v_lshlrev_b32_e32 v8, 6, v11
	v_lshrrev_b16_e32 v0, 6, v0
	v_mul_u32_u24_e32 v0, 0x2493, v0
	v_lshlrev_b32_sdwa v9, v13, v3 dst_sel:DWORD dst_unused:UNUSED_PAD src0_sel:DWORD src1_sel:BYTE_0
	v_lshlrev_b32_sdwa v11, v13, v3 dst_sel:DWORD dst_unused:UNUSED_PAD src0_sel:DWORD src1_sel:BYTE_1
	global_load_dword v23, v9, s[12:13]
	global_load_dword v24, v11, s[12:13] offset:1024
	v_lshlrev_b32_sdwa v3, v13, v3 dst_sel:DWORD dst_unused:UNUSED_PAD src0_sel:DWORD src1_sel:BYTE_2
	global_load_dword v3, v3, s[12:13] offset:2048
	v_add3_u32 v11, 0, v8, v12
	ds_read2st64_b32 v[8:9], v11 offset0:14 offset1:21
	ds_read2st64_b32 v[11:12], v11 offset1:7
	s_waitcnt lgkmcnt(1)
	v_lshrrev_b32_e32 v13, 16, v8
	v_lshrrev_b32_e32 v25, 16, v9
	s_waitcnt lgkmcnt(0)
	v_lshrrev_b32_e32 v26, 16, v12
	v_lshrrev_b32_e32 v27, 16, v11
	s_waitcnt vmcnt(12)
	v_mul_f16_sdwa v29, v7, v25 dst_sel:DWORD dst_unused:UNUSED_PAD src0_sel:WORD_1 src1_sel:DWORD
	v_mul_f16_sdwa v30, v6, v13 dst_sel:DWORD dst_unused:UNUSED_PAD src0_sel:WORD_1 src1_sel:DWORD
	;; [unrolled: 1-line block ×4, first 2 shown]
	v_fma_f16 v9, v7, v9, v29
	v_fma_f16 v8, v6, v8, v30
	v_mul_f16_sdwa v29, v5, v12 dst_sel:DWORD dst_unused:UNUSED_PAD src0_sel:WORD_1 src1_sel:DWORD
	v_mul_f16_sdwa v30, v5, v26 dst_sel:DWORD dst_unused:UNUSED_PAD src0_sel:WORD_1 src1_sel:DWORD
	v_fma_f16 v6, v6, v13, -v28
	v_fma_f16 v7, v7, v25, -v31
	;; [unrolled: 1-line block ×3, first 2 shown]
	v_fma_f16 v5, v5, v12, v30
	v_sub_f16_e32 v6, v27, v6
	v_sub_f16_e32 v9, v5, v9
	;; [unrolled: 1-line block ×5, first 2 shown]
	v_add_f16_e32 v25, v8, v7
	v_fma_f16 v7, v13, 2.0, -v7
	v_fma_f16 v5, v5, 2.0, -v9
	s_waitcnt vmcnt(11)
	v_lshrrev_b32_e32 v9, 16, v18
	s_waitcnt vmcnt(10)
	v_mul_f16_sdwa v13, v18, v19 dst_sel:DWORD dst_unused:UNUSED_PAD src0_sel:DWORD src1_sel:WORD_1
	v_fma_f16 v26, v27, 2.0, -v6
	s_waitcnt vmcnt(9)
	v_lshrrev_b32_e32 v27, 16, v16
	s_waitcnt vmcnt(8)
	v_mul_f16_sdwa v28, v16, v20 dst_sel:DWORD dst_unused:UNUSED_PAD src0_sel:DWORD src1_sel:WORD_1
	v_fma_f16 v13, v9, v19, v13
	v_mul_f16_sdwa v9, v9, v19 dst_sel:DWORD dst_unused:UNUSED_PAD src0_sel:DWORD src1_sel:WORD_1
	v_mul_f16_sdwa v29, v27, v20 dst_sel:DWORD dst_unused:UNUSED_PAD src0_sel:DWORD src1_sel:WORD_1
	v_fma_f16 v27, v27, v20, v28
	v_fma_f16 v9, v18, v19, -v9
	s_waitcnt vmcnt(5)
	v_mul_f16_sdwa v18, v13, v22 dst_sel:DWORD dst_unused:UNUSED_PAD src0_sel:DWORD src1_sel:WORD_1
	v_fma_f16 v16, v16, v20, -v29
	v_mul_f16_sdwa v19, v27, v21 dst_sel:DWORD dst_unused:UNUSED_PAD src0_sel:DWORD src1_sel:WORD_1
	v_fma_f16 v18, v22, v9, -v18
	v_mul_f16_sdwa v9, v9, v22 dst_sel:DWORD dst_unused:UNUSED_PAD src0_sel:DWORD src1_sel:WORD_1
	v_fma_f16 v11, v11, 2.0, -v8
	v_fma_f16 v19, v21, v16, -v19
	v_mul_f16_sdwa v16, v16, v21 dst_sel:DWORD dst_unused:UNUSED_PAD src0_sel:DWORD src1_sel:WORD_1
	v_fma_f16 v9, v22, v13, v9
	v_sub_f16_e32 v7, v26, v7
	v_sub_f16_e32 v5, v11, v5
	v_fma_f16 v13, v21, v27, v16
	v_mul_f16_e32 v16, v25, v9
	v_mul_f16_e32 v9, v12, v9
	;; [unrolled: 1-line block ×4, first 2 shown]
	v_fma_f16 v16, v12, v18, -v16
	v_fma_f16 v6, v6, 2.0, -v12
	s_waitcnt vmcnt(4)
	v_lshrrev_b32_e32 v12, 16, v15
	v_fma_f16 v9, v25, v18, v9
	v_fma_f16 v18, v7, v19, -v20
	v_fma_f16 v13, v5, v19, v13
	s_waitcnt vmcnt(3)
	v_mul_f16_sdwa v19, v12, v14 dst_sel:DWORD dst_unused:UNUSED_PAD src0_sel:DWORD src1_sel:WORD_1
	v_fma_f16 v19, v15, v14, -v19
	v_mul_f16_sdwa v15, v15, v14 dst_sel:DWORD dst_unused:UNUSED_PAD src0_sel:DWORD src1_sel:WORD_1
	v_fma_f16 v12, v12, v14, v15
	v_mul_f16_sdwa v15, v19, v17 dst_sel:DWORD dst_unused:UNUSED_PAD src0_sel:DWORD src1_sel:WORD_1
	v_mul_f16_sdwa v14, v12, v17 dst_sel:DWORD dst_unused:UNUSED_PAD src0_sel:DWORD src1_sel:WORD_1
	v_fma_f16 v8, v8, 2.0, -v25
	v_fma_f16 v12, v17, v12, v15
	v_fma_f16 v14, v17, v19, -v14
	v_mul_f16_e32 v15, v8, v12
	v_fma_f16 v15, v6, v14, -v15
	v_mul_f16_e32 v6, v6, v12
	v_fma_f16 v12, v8, v14, v6
	s_waitcnt vmcnt(2)
	v_lshrrev_b32_e32 v6, 16, v23
	v_fma_f16 v14, v26, 2.0, -v7
	s_waitcnt vmcnt(1)
	v_mul_f16_sdwa v7, v6, v24 dst_sel:DWORD dst_unused:UNUSED_PAD src0_sel:DWORD src1_sel:WORD_1
	v_fma_f16 v7, v23, v24, -v7
	v_mul_f16_sdwa v8, v23, v24 dst_sel:DWORD dst_unused:UNUSED_PAD src0_sel:DWORD src1_sel:WORD_1
	v_fma_f16 v6, v6, v24, v8
	v_fma_f16 v11, v11, 2.0, -v5
	s_waitcnt vmcnt(0)
	v_mul_f16_sdwa v5, v7, v3 dst_sel:DWORD dst_unused:UNUSED_PAD src0_sel:DWORD src1_sel:WORD_1
	v_mul_f16_sdwa v8, v6, v3 dst_sel:DWORD dst_unused:UNUSED_PAD src0_sel:DWORD src1_sel:WORD_1
	v_fma_f16 v19, v3, v6, v5
	v_mad_u64_u32 v[5:6], s[0:1], s10, v10, 0
	s_movk_i32 s0, 0x70
	v_mul_lo_u16_sdwa v0, v0, s0 dst_sel:DWORD dst_unused:UNUSED_PAD src0_sel:WORD_1 src1_sel:DWORD
	v_fma_f16 v17, v3, v7, -v8
	v_mul_f16_e32 v3, v11, v19
	v_add_u32_e32 v21, v0, v4
	v_fma_f16 v20, v14, v17, -v3
	v_mad_u64_u32 v[3:4], s[0:1], s8, v21, 0
	v_mov_b32_e32 v0, v6
	v_mad_u64_u32 v[6:7], s[0:1], s11, v10, v[0:1]
	v_mov_b32_e32 v0, v4
	v_mad_u64_u32 v[7:8], s[0:1], s9, v21, v[0:1]
	v_mul_f16_e32 v0, v14, v19
	v_fma_f16 v8, v11, v17, v0
	v_mov_b32_e32 v4, v7
	v_mov_b32_e32 v0, s17
	v_add_co_u32_e32 v7, vcc, s16, v1
	v_add_u32_e32 v10, 28, v21
	v_addc_co_u32_e32 v2, vcc, v0, v2, vcc
	v_lshlrev_b64 v[0:1], 2, v[5:6]
	v_mad_u64_u32 v[5:6], s[0:1], s8, v10, 0
	v_add_co_u32_e32 v7, vcc, v7, v0
	v_addc_co_u32_e32 v11, vcc, v2, v1, vcc
	v_mov_b32_e32 v2, v6
	v_lshlrev_b64 v[0:1], 2, v[3:4]
	v_mad_u64_u32 v[2:3], s[0:1], s9, v10, v[2:3]
	v_add_co_u32_e32 v0, vcc, v7, v0
	v_addc_co_u32_e32 v1, vcc, v11, v1, vcc
	v_pack_b32_f16 v3, v8, v20
	v_add_u32_e32 v4, 56, v21
	global_store_dword v[0:1], v3, off
	v_mov_b32_e32 v6, v2
	v_mad_u64_u32 v[2:3], s[0:1], s8, v4, 0
	v_add_u32_e32 v8, 0x54, v21
	v_lshlrev_b64 v[0:1], 2, v[5:6]
	v_mad_u64_u32 v[3:4], s[0:1], s9, v4, v[3:4]
	v_mad_u64_u32 v[4:5], s[0:1], s8, v8, 0
	v_add_co_u32_e32 v0, vcc, v7, v0
	v_addc_co_u32_e32 v1, vcc, v11, v1, vcc
	v_pack_b32_f16 v6, v12, v15
	global_store_dword v[0:1], v6, off
	v_lshlrev_b64 v[0:1], 2, v[2:3]
	v_mov_b32_e32 v2, v5
	v_mad_u64_u32 v[2:3], s[0:1], s9, v8, v[2:3]
	v_add_co_u32_e32 v0, vcc, v7, v0
	v_addc_co_u32_e32 v1, vcc, v11, v1, vcc
	v_pack_b32_f16 v3, v13, v18
	v_mov_b32_e32 v5, v2
	global_store_dword v[0:1], v3, off
	v_lshlrev_b64 v[0:1], 2, v[4:5]
	v_pack_b32_f16 v2, v9, v16
	v_add_co_u32_e32 v0, vcc, v7, v0
	v_addc_co_u32_e32 v1, vcc, v11, v1, vcc
	global_store_dword v[0:1], v2, off
.LBB0_19:
	s_endpgm
	.section	.rodata,"a",@progbits
	.p2align	6, 0x0
	.amdhsa_kernel fft_rtc_back_len112_factors_4_7_4_wgs_448_tpt_28_half_ip_CI_sbcc_twdbase8_3step_dirReg
		.amdhsa_group_segment_fixed_size 0
		.amdhsa_private_segment_fixed_size 0
		.amdhsa_kernarg_size 96
		.amdhsa_user_sgpr_count 6
		.amdhsa_user_sgpr_private_segment_buffer 1
		.amdhsa_user_sgpr_dispatch_ptr 0
		.amdhsa_user_sgpr_queue_ptr 0
		.amdhsa_user_sgpr_kernarg_segment_ptr 1
		.amdhsa_user_sgpr_dispatch_id 0
		.amdhsa_user_sgpr_flat_scratch_init 0
		.amdhsa_user_sgpr_private_segment_size 0
		.amdhsa_uses_dynamic_stack 0
		.amdhsa_system_sgpr_private_segment_wavefront_offset 0
		.amdhsa_system_sgpr_workgroup_id_x 1
		.amdhsa_system_sgpr_workgroup_id_y 0
		.amdhsa_system_sgpr_workgroup_id_z 0
		.amdhsa_system_sgpr_workgroup_info 0
		.amdhsa_system_vgpr_workitem_id 0
		.amdhsa_next_free_vgpr 33
		.amdhsa_next_free_sgpr 43
		.amdhsa_reserve_vcc 1
		.amdhsa_reserve_flat_scratch 0
		.amdhsa_float_round_mode_32 0
		.amdhsa_float_round_mode_16_64 0
		.amdhsa_float_denorm_mode_32 3
		.amdhsa_float_denorm_mode_16_64 3
		.amdhsa_dx10_clamp 1
		.amdhsa_ieee_mode 1
		.amdhsa_fp16_overflow 0
		.amdhsa_exception_fp_ieee_invalid_op 0
		.amdhsa_exception_fp_denorm_src 0
		.amdhsa_exception_fp_ieee_div_zero 0
		.amdhsa_exception_fp_ieee_overflow 0
		.amdhsa_exception_fp_ieee_underflow 0
		.amdhsa_exception_fp_ieee_inexact 0
		.amdhsa_exception_int_div_zero 0
	.end_amdhsa_kernel
	.text
.Lfunc_end0:
	.size	fft_rtc_back_len112_factors_4_7_4_wgs_448_tpt_28_half_ip_CI_sbcc_twdbase8_3step_dirReg, .Lfunc_end0-fft_rtc_back_len112_factors_4_7_4_wgs_448_tpt_28_half_ip_CI_sbcc_twdbase8_3step_dirReg
                                        ; -- End function
	.section	.AMDGPU.csdata,"",@progbits
; Kernel info:
; codeLenInByte = 3960
; NumSgprs: 47
; NumVgprs: 33
; ScratchSize: 0
; MemoryBound: 0
; FloatMode: 240
; IeeeMode: 1
; LDSByteSize: 0 bytes/workgroup (compile time only)
; SGPRBlocks: 5
; VGPRBlocks: 8
; NumSGPRsForWavesPerEU: 47
; NumVGPRsForWavesPerEU: 33
; Occupancy: 7
; WaveLimiterHint : 1
; COMPUTE_PGM_RSRC2:SCRATCH_EN: 0
; COMPUTE_PGM_RSRC2:USER_SGPR: 6
; COMPUTE_PGM_RSRC2:TRAP_HANDLER: 0
; COMPUTE_PGM_RSRC2:TGID_X_EN: 1
; COMPUTE_PGM_RSRC2:TGID_Y_EN: 0
; COMPUTE_PGM_RSRC2:TGID_Z_EN: 0
; COMPUTE_PGM_RSRC2:TIDIG_COMP_CNT: 0
	.type	__hip_cuid_c323025c87fa725d,@object ; @__hip_cuid_c323025c87fa725d
	.section	.bss,"aw",@nobits
	.globl	__hip_cuid_c323025c87fa725d
__hip_cuid_c323025c87fa725d:
	.byte	0                               ; 0x0
	.size	__hip_cuid_c323025c87fa725d, 1

	.ident	"AMD clang version 19.0.0git (https://github.com/RadeonOpenCompute/llvm-project roc-6.4.0 25133 c7fe45cf4b819c5991fe208aaa96edf142730f1d)"
	.section	".note.GNU-stack","",@progbits
	.addrsig
	.addrsig_sym __hip_cuid_c323025c87fa725d
	.amdgpu_metadata
---
amdhsa.kernels:
  - .args:
      - .actual_access:  read_only
        .address_space:  global
        .offset:         0
        .size:           8
        .value_kind:     global_buffer
      - .address_space:  global
        .offset:         8
        .size:           8
        .value_kind:     global_buffer
      - .offset:         16
        .size:           8
        .value_kind:     by_value
      - .actual_access:  read_only
        .address_space:  global
        .offset:         24
        .size:           8
        .value_kind:     global_buffer
      - .actual_access:  read_only
        .address_space:  global
        .offset:         32
        .size:           8
        .value_kind:     global_buffer
      - .offset:         40
        .size:           8
        .value_kind:     by_value
      - .actual_access:  read_only
        .address_space:  global
        .offset:         48
        .size:           8
        .value_kind:     global_buffer
      - .actual_access:  read_only
        .address_space:  global
        .offset:         56
        .size:           8
        .value_kind:     global_buffer
      - .offset:         64
        .size:           4
        .value_kind:     by_value
      - .actual_access:  read_only
        .address_space:  global
        .offset:         72
        .size:           8
        .value_kind:     global_buffer
      - .actual_access:  read_only
        .address_space:  global
        .offset:         80
        .size:           8
        .value_kind:     global_buffer
      - .address_space:  global
        .offset:         88
        .size:           8
        .value_kind:     global_buffer
    .group_segment_fixed_size: 0
    .kernarg_segment_align: 8
    .kernarg_segment_size: 96
    .language:       OpenCL C
    .language_version:
      - 2
      - 0
    .max_flat_workgroup_size: 448
    .name:           fft_rtc_back_len112_factors_4_7_4_wgs_448_tpt_28_half_ip_CI_sbcc_twdbase8_3step_dirReg
    .private_segment_fixed_size: 0
    .sgpr_count:     47
    .sgpr_spill_count: 0
    .symbol:         fft_rtc_back_len112_factors_4_7_4_wgs_448_tpt_28_half_ip_CI_sbcc_twdbase8_3step_dirReg.kd
    .uniform_work_group_size: 1
    .uses_dynamic_stack: false
    .vgpr_count:     33
    .vgpr_spill_count: 0
    .wavefront_size: 64
amdhsa.target:   amdgcn-amd-amdhsa--gfx906
amdhsa.version:
  - 1
  - 2
...

	.end_amdgpu_metadata
